;; amdgpu-corpus repo=ROCm/aiter kind=harvested arch=n/a opt=n/a

/root/src/amdgpu-assembly/repos/ROCm__aiter/hsa/gfx942/fmha_v3_bwd/bwd_hd64_dq_convert_bf16_rtna_group.co:	file format elf64-amdgpu

Disassembly of section .text:

0000000000002100 <_ZN5aiter40fmha_bwd_hd64_dq_convert_bf16_rtna_groupE>:
	s_and_b32 s1, s1, 0xffff                                   // 000000002100: 8601FF01 0000FFFF
	s_load_dwordx2 s[12:13], s[0:1], 0x0                       // 000000002108: C0060300 00000000
	s_load_dwordx2 s[16:17], s[0:1], 0x10                      // 000000002110: C0060400 00000010
	s_load_dword s6, s[0:1], 0x20                              // 000000002118: C0020180 00000020
	s_load_dword s8, s[0:1], 0x40                              // 000000002120: C0020200 00000040
	s_load_dword s9, s[0:1], 0x50                              // 000000002128: C0020240 00000050
	s_load_dword s11, s[0:1], 0x70                             // 000000002130: C00202C0 00000070
	s_load_dword s34, s[0:1], 0x90                             // 000000002138: C0020880 00000090
	s_load_dwordx2 s[40:41], s[0:1], 0xa0                      // 000000002140: C0060A00 000000A0
	s_load_dwordx2 s[44:45], s[0:1], 0xb0                      // 000000002148: C0060B00 000000B0
	v_lshrrev_b32_e32 v1, 10, v0                               // 000000002150: 2002008A
	v_lshrrev_b32_e32 v2, 10, v1                               // 000000002154: 2004028A
	v_and_b32_e32 v2, 0x3ff, v2                                // 000000002158: 260404FF 000003FF
	v_and_b32_e32 v1, 0x3ff, v1                                // 000000002160: 260202FF 000003FF
	v_and_b32_e32 v0, 0x3ff, v0                                // 000000002168: 260000FF 000003FF
	v_lshrrev_b32_e32 v3, 6, v0                                // 000000002170: 20060086
	v_and_b32_e32 v0, 63, v0                                   // 000000002174: 260000BF
	s_mov_b32 s2, s2                                           // 000000002178: BE820002
	s_mov_b32 s3, s3                                           // 00000000217C: BE830003
	s_mov_b32 s4, s4                                           // 000000002180: BE840004
	v_readfirstlane_b32 s24, v3                                // 000000002184: 7E300503
	s_waitcnt lgkmcnt(0)                                       // 000000002188: BF8CC07F
	s_mul_i32 s25, s4, 4                                       // 00000000218C: 92198404
	s_add_u32 s40, s25, s40                                    // 000000002190: 80282819
	s_addc_u32 s41, 0, s41                                     // 000000002194: 82292980
	s_load_dwordx2 s[42:43], s[40:41], 0x0                     // 000000002198: C0060A94 00000000
	s_add_u32 s44, s25, s44                                    // 0000000021A0: 802C2C19
	s_addc_u32 s45, 0, s45                                     // 0000000021A4: 822D2D80
	s_load_dword s46, s[44:45], 0x0                            // 0000000021A8: C0020B96 00000000
	s_mov_b32 s15, 0x20000                                     // 0000000021B0: BE8F00FF 00020000
	s_mov_b32 s19, 0x20000                                     // 0000000021B8: BE9300FF 00020000
	s_and_b32 s13, s13, 0xffff                                 // 0000000021C0: 860DFF0D 0000FFFF
	s_and_b32 s17, s17, 0xffff                                 // 0000000021C8: 8611FF11 0000FFFF
	s_or_b32 s13, s13, 0x40000                                 // 0000000021D0: 870DFF0D 00040000
	s_or_b32 s17, s17, 0x40000                                 // 0000000021D8: 8711FF11 00040000
	v_mov_b32_e32 v21, 0                                       // 0000000021E0: 7E2A0280
	s_mov_b32 s20, s12                                         // 0000000021E4: BE94000C
	s_mov_b32 s21, s13                                         // 0000000021E8: BE95000D
	s_mov_b32 s22, s16                                         // 0000000021EC: BE960010
	s_mov_b32 s23, s17                                         // 0000000021F0: BE970011
	s_waitcnt lgkmcnt(0)                                       // 0000000021F4: BF8CC07F
	s_mul_i32 s25, s2, 64                                      // 0000000021F8: 9219C002
	s_sub_i32 s35, s43, s42                                    // 0000000021FC: 81A32A2B
	s_mov_b32 s42, s46                                         // 000000002200: BEAA002E
	s_cmp_ge_i32 s25, s35                                      // 000000002204: BF032319
	s_cbranch_scc1 label_01FD                                  // 000000002208: BF8501BA
	s_mov_b32 s38, 0x7060302                                   // 00000000220C: BEA600FF 07060302
	s_mul_i32 s25, s8, 64                                      // 000000002214: 9219C008
	s_mul_i32 s25, s2, s25                                     // 000000002218: 92191902
	s_mul_i32 s26, s35, s8                                     // 00000000221C: 921A0823
	s_sub_i32 s26, s26, s25                                    // 000000002220: 819A191A
	s_mov_b32 s14, s26                                         // 000000002224: BE8E001A
	s_add_u32 s12, s25, s20                                    // 000000002228: 800C1419
	s_addc_u32 s13, 0, s21                                     // 00000000222C: 820D1580
	s_mul_i32 s25, s3, s6                                      // 000000002230: 92190603
	s_mul_hi_u32 s26, s3, s6                                   // 000000002234: 961A0603
	s_and_b32 s26, s26, 0xffff                                 // 000000002238: 861AFF1A 0000FFFF
	s_add_u32 s12, s12, s25                                    // 000000002240: 800C190C
	s_addc_u32 s13, s13, s26                                   // 000000002244: 820D1A0D
	s_mul_i32 s25, s42, s8                                     // 000000002248: 9219082A
	s_mul_hi_u32 s26, s42, s8                                  // 00000000224C: 961A082A
	s_and_b32 s26, s26, 0xffff                                 // 000000002250: 861AFF1A 0000FFFF
	s_add_u32 s12, s12, s25                                    // 000000002258: 800C190C
	s_addc_u32 s13, s13, s26                                   // 00000000225C: 820D1A0D
	s_mul_i32 s25, s11, 64                                     // 000000002260: 9219C00B
	s_mul_i32 s25, s2, s25                                     // 000000002264: 92191902
	s_mul_i32 s26, s35, s11                                    // 000000002268: 921A0B23
	s_sub_i32 s26, s26, s25                                    // 00000000226C: 819A191A
	s_mov_b32 s18, s26                                         // 000000002270: BE92001A
	s_add_u32 s16, s25, s22                                    // 000000002274: 80101619
	s_addc_u32 s17, 0, s23                                     // 000000002278: 82111780
	s_mul_i32 s25, s3, s9                                      // 00000000227C: 92190903
	s_mul_hi_u32 s26, s3, s9                                   // 000000002280: 961A0903
	s_and_b32 s26, s26, 0xffff                                 // 000000002284: 861AFF1A 0000FFFF
	s_add_u32 s16, s16, s25                                    // 00000000228C: 80101910
	s_addc_u32 s17, s17, s26                                   // 000000002290: 82111A11
	s_mul_i32 s25, s42, s11                                    // 000000002294: 92190B2A
	s_mul_hi_u32 s26, s42, s11                                 // 000000002298: 961A0B2A
	s_and_b32 s26, s26, 0xffff                                 // 00000000229C: 861AFF1A 0000FFFF
	s_add_u32 s16, s16, s25                                    // 0000000022A4: 80101910
	s_addc_u32 s17, s17, s26                                   // 0000000022A8: 82111A11
	v_readfirstlane_b32 s24, v3                                // 0000000022AC: 7E300503
	v_lshrrev_b32_e32 v14, 4, v0                               // 0000000022B0: 201C0084
	v_mul_i32_i24_e32 v14, s8, v14                             // 0000000022B4: 0C1C1C08
	v_and_b32_e32 v15, 15, v0                                  // 0000000022B8: 261E008F
	v_mul_i32_i24_e32 v15, 16, v15                             // 0000000022BC: 0C1E1E90
	v_add_u32_e32 v15, v14, v15                                // 0000000022C0: 681E1F0E
	v_mov_b32_e32 v4, v15                                      // 0000000022C4: 7E08030F
	s_mul_i32 s25, 16, s8                                      // 0000000022C8: 92190890
	s_mul_i32 s25, s24, s25                                    // 0000000022CC: 92191918
	v_add_u32_e32 v4, s25, v4                                  // 0000000022D0: 68080819
	v_mov_b32_e32 v6, 0                                        // 0000000022D4: 7E0C0280
	v_lshrrev_b32_e32 v14, 5, v0                               // 0000000022D8: 201C0085
	v_lshlrev_b32_e32 v14, 1, v14                              // 0000000022DC: 241C1C81
	v_mul_i32_i24_e32 v14, s11, v14                            // 0000000022E0: 0C1C1C0B
	v_and_b32_e32 v15, 15, v0                                  // 0000000022E4: 261E008F
	v_lshlrev_b32_e32 v15, 3, v15                              // 0000000022E8: 241E1E83
	v_and_b32_e32 v16, 31, v0                                  // 0000000022EC: 2620009F
	v_lshrrev_b32_e32 v16, 4, v16                              // 0000000022F0: 20202084
	v_lshlrev_b32_e32 v16, 2, v16                              // 0000000022F4: 24202082
	v_add_u32_e32 v6, v14, v6                                  // 0000000022F8: 680C0D0E
	v_add_u32_e32 v6, v15, v6                                  // 0000000022FC: 680C0D0F
	v_add_u32_e32 v6, v16, v6                                  // 000000002300: 680C0D10
	s_mul_i32 s25, 16, s11                                     // 000000002304: 92190B90
	s_mul_i32 s25, s24, s25                                    // 000000002308: 92191918
	v_add_u32_e32 v6, s25, v6                                  // 00000000230C: 680C0C19
	v_and_b32_e32 v14, 15, v0                                  // 000000002310: 261C008F
	v_lshlrev_b32_e32 v14, 2, v14                              // 000000002314: 241C1C82
	s_sub_i32 s25, s34, 0                                      // 000000002318: 81998022
	v_cmp_lt_u32_e64 s[30:31], v14, s25                        // 00000000231C: D0C9001E 0000330E
	v_and_b32_e32 v14, 15, v0                                  // 000000002324: 261C008F
	v_lshrrev_b32_e32 v14, 1, v14                              // 000000002328: 201C1C81
	v_lshlrev_b32_e32 v14, 3, v14                              // 00000000232C: 241C1C83
	s_sub_i32 s25, s34, 0                                      // 000000002330: 81998022
	v_cmp_lt_u32_e64 s[32:33], v14, s25                        // 000000002334: D0C90020 0000330E
	v_mov_b32_e32 v18, 0xffff0000                              // 00000000233C: 7E2402FF FFFF0000
	v_mov_b32_e32 v19, 0x7fff0000                              // 000000002344: 7E2602FF 7FFF0000
	v_mov_b32_e32 v20, 0x7fff                                  // 00000000234C: 7E2802FF 00007FFF
	s_mul_i32 s25, s8, 0                                       // 000000002354: 92198008
	s_lshl_b32 s25, s25, 2                                     // 000000002358: 8E198219
	v_add_u32_e32 v5, s25, v4                                  // 00000000235C: 680A0819
	v_mov_b32_e32 v8, 0                                        // 000000002360: 7E100280
	v_mov_b32_e32 v9, 0                                        // 000000002364: 7E120280
	v_mov_b32_e32 v10, 0                                       // 000000002368: 7E140280
	v_mov_b32_e32 v11, 0                                       // 00000000236C: 7E160280
	s_mov_b64 exec, s[30:31]                                   // 000000002370: BEFE011E
	buffer_load_dwordx4 v[8:11], v5, s[12:15], 0 offen         // 000000002374: E05C1000 80030805
	s_mov_b64 exec, -1                                         // 00000000237C: BEFE01C1
	v_add_u32_e32 v5, 0x100, v5                                // 000000002380: 680A0AFF 00000100
	s_waitcnt vmcnt(0) expcnt(0) lgkmcnt(0)                    // 000000002388: BF8C0000
	s_barrier                                                  // 00000000238C: BF8A0000
	v_cmp_u_f32_e64 s[36:37], v8, v8                           // 000000002390: D0480024 00021108
	v_add3_u32 v17, v8, v20, 1                                 // 000000002398: D1FF0011 02062908
	v_cndmask_b32_e64 v14, v17, v19, s[36:37]                  // 0000000023A0: D100000E 00922711
	v_cmp_u_f32_e64 s[36:37], v9, v9                           // 0000000023A8: D0480024 00021309
	v_add3_u32 v17, v9, v20, 1                                 // 0000000023B0: D1FF0011 02062909
	v_cndmask_b32_e64 v15, v17, v19, s[36:37]                  // 0000000023B8: D100000F 00922711
	v_perm_b32 v12, v15, v14, s38                              // 0000000023C0: D1ED000C 009A1D0F
	v_cmp_u_f32_e64 s[36:37], v10, v10                         // 0000000023C8: D0480024 0002150A
	v_add3_u32 v17, v10, v20, 1                                // 0000000023D0: D1FF0011 0206290A
	v_cndmask_b32_e64 v14, v17, v19, s[36:37]                  // 0000000023D8: D100000E 00922711
	v_cmp_u_f32_e64 s[36:37], v11, v11                         // 0000000023E0: D0480024 0002170B
	v_add3_u32 v17, v11, v20, 1                                // 0000000023E8: D1FF0011 0206290B
	v_cndmask_b32_e64 v15, v17, v19, s[36:37]                  // 0000000023F0: D100000F 00922711
	v_perm_b32 v13, v15, v14, s38                              // 0000000023F8: D1ED000D 009A1D0F
	s_nop 1                                                    // 000000002400: BF800001
	s_mul_i32 s25, s24, 0x100                                  // 000000002404: 9219FF18 00000100
	s_lshl_b32 s25, s25, 2                                     // 00000000240C: 8E198219
	v_mov_b32_e32 v14, v0                                      // 000000002410: 7E1C0300
	v_lshlrev_b32_e32 v14, 2, v14                              // 000000002414: 241C1C82
	v_add_u32_e64 v14, v14, s25                                // 000000002418: D134000E 0000330E
	v_add_u32_e32 v15, 0x100, v14                              // 000000002420: 681E1CFF 00000100
	ds_write_b32 v14, v12                                      // 000000002428: D81A0000 00000C0E
	ds_write_b32 v15, v13                                      // 000000002430: D81A0000 00000D0F
	s_barrier                                                  // 000000002438: BF8A0000
	v_lshrrev_b32_e32 v14, 4, v0                               // 00000000243C: 201C0084
	v_and_b32_e64 v15, v14, 1                                  // 000000002440: D113000F 0001030E
	v_lshrrev_b32_e32 v16, 1, v14                              // 000000002448: 20201C81
	v_lshlrev_b32_e32 v14, 1, v15                              // 00000000244C: 241C1E81
	v_add_u32_e32 v14, v14, v16                                // 000000002450: 681C210E
	v_lshlrev_b32_e32 v14, 7, v14                              // 000000002454: 241C1C87
	v_and_b32_e64 v15, v0, 15                                  // 000000002458: D113000F 00011F00
	v_lshlrev_b32_e32 v15, 2, v15                              // 000000002460: 241E1E82
	v_add_u32_e32 v14, v15, v14                                // 000000002464: 681C1D0F
	v_add_u32_e64 v14, v14, s25                                // 000000002468: D134000E 0000330E
	v_add_u32_e32 v15, 64, v14                                 // 000000002470: 681E1CC0
	ds_read_b32 v12, v14                                       // 000000002474: D86C0000 0C00000E
	ds_read_b32 v13, v15                                       // 00000000247C: D86C0000 0D00000F
	s_barrier                                                  // 000000002484: BF8A0000
	s_nop 1                                                    // 000000002488: BF800001
	s_mul_i32 s25, s11, 0                                      // 00000000248C: 9219800B
	s_lshl_b32 s25, s25, 2                                     // 000000002490: 8E198219
	s_lshl_b32 s26, 0, 7                                       // 000000002494: 8E1A8780
	v_add_u32_e32 v7, s25, v6                                  // 000000002498: 680E0C19
	v_add_u32_e32 v7, s26, v7                                  // 00000000249C: 680E0E1A
	s_mov_b64 exec, s[32:33]                                   // 0000000024A0: BEFE0120
	buffer_store_dword v12, v7, s[16:19], 0 offen              // 0000000024A4: E0701000 80040C07
	v_add_u32_e32 v7, s11, v7                                  // 0000000024AC: 680E0E0B
	buffer_store_dword v13, v7, s[16:19], 0 offen              // 0000000024B0: E0701000 80040D07
	s_mov_b64 exec, -1                                         // 0000000024B8: BEFE01C1
	s_mul_i32 s25, s8, 1                                       // 0000000024BC: 92198108
	s_lshl_b32 s25, s25, 2                                     // 0000000024C0: 8E198219
	v_add_u32_e32 v5, s25, v4                                  // 0000000024C4: 680A0819
	v_mov_b32_e32 v8, 0                                        // 0000000024C8: 7E100280
	v_mov_b32_e32 v9, 0                                        // 0000000024CC: 7E120280
	v_mov_b32_e32 v10, 0                                       // 0000000024D0: 7E140280
	v_mov_b32_e32 v11, 0                                       // 0000000024D4: 7E160280
	s_mov_b64 exec, s[30:31]                                   // 0000000024D8: BEFE011E
	buffer_load_dwordx4 v[8:11], v5, s[12:15], 0 offen         // 0000000024DC: E05C1000 80030805
	s_mov_b64 exec, -1                                         // 0000000024E4: BEFE01C1
	v_add_u32_e32 v5, 0x100, v5                                // 0000000024E8: 680A0AFF 00000100
	s_waitcnt vmcnt(0) expcnt(0) lgkmcnt(0)                    // 0000000024F0: BF8C0000
	s_barrier                                                  // 0000000024F4: BF8A0000
	v_cmp_u_f32_e64 s[36:37], v8, v8                           // 0000000024F8: D0480024 00021108
	v_add3_u32 v17, v8, v20, 1                                 // 000000002500: D1FF0011 02062908
	v_cndmask_b32_e64 v14, v17, v19, s[36:37]                  // 000000002508: D100000E 00922711
	v_cmp_u_f32_e64 s[36:37], v9, v9                           // 000000002510: D0480024 00021309
	v_add3_u32 v17, v9, v20, 1                                 // 000000002518: D1FF0011 02062909
	v_cndmask_b32_e64 v15, v17, v19, s[36:37]                  // 000000002520: D100000F 00922711
	v_perm_b32 v12, v15, v14, s38                              // 000000002528: D1ED000C 009A1D0F
	v_cmp_u_f32_e64 s[36:37], v10, v10                         // 000000002530: D0480024 0002150A
	v_add3_u32 v17, v10, v20, 1                                // 000000002538: D1FF0011 0206290A
	v_cndmask_b32_e64 v14, v17, v19, s[36:37]                  // 000000002540: D100000E 00922711
	v_cmp_u_f32_e64 s[36:37], v11, v11                         // 000000002548: D0480024 0002170B
	v_add3_u32 v17, v11, v20, 1                                // 000000002550: D1FF0011 0206290B
	v_cndmask_b32_e64 v15, v17, v19, s[36:37]                  // 000000002558: D100000F 00922711
	v_perm_b32 v13, v15, v14, s38                              // 000000002560: D1ED000D 009A1D0F
	s_nop 1                                                    // 000000002568: BF800001
	s_mul_i32 s25, s24, 0x100                                  // 00000000256C: 9219FF18 00000100
	s_lshl_b32 s25, s25, 2                                     // 000000002574: 8E198219
	v_mov_b32_e32 v14, v0                                      // 000000002578: 7E1C0300
	v_lshlrev_b32_e32 v14, 2, v14                              // 00000000257C: 241C1C82
	v_add_u32_e64 v14, v14, s25                                // 000000002580: D134000E 0000330E
	v_add_u32_e32 v15, 0x100, v14                              // 000000002588: 681E1CFF 00000100
	ds_write_b32 v14, v12                                      // 000000002590: D81A0000 00000C0E
	ds_write_b32 v15, v13                                      // 000000002598: D81A0000 00000D0F
	s_barrier                                                  // 0000000025A0: BF8A0000
	v_lshrrev_b32_e32 v14, 4, v0                               // 0000000025A4: 201C0084
	v_and_b32_e64 v15, v14, 1                                  // 0000000025A8: D113000F 0001030E
	v_lshrrev_b32_e32 v16, 1, v14                              // 0000000025B0: 20201C81
	v_lshlrev_b32_e32 v14, 1, v15                              // 0000000025B4: 241C1E81
	v_add_u32_e32 v14, v14, v16                                // 0000000025B8: 681C210E
	v_lshlrev_b32_e32 v14, 7, v14                              // 0000000025BC: 241C1C87
	v_and_b32_e64 v15, v0, 15                                  // 0000000025C0: D113000F 00011F00
	v_lshlrev_b32_e32 v15, 2, v15                              // 0000000025C8: 241E1E82
	v_add_u32_e32 v14, v15, v14                                // 0000000025CC: 681C1D0F
	v_add_u32_e64 v14, v14, s25                                // 0000000025D0: D134000E 0000330E
	v_add_u32_e32 v15, 64, v14                                 // 0000000025D8: 681E1CC0
	ds_read_b32 v12, v14                                       // 0000000025DC: D86C0000 0C00000E
	ds_read_b32 v13, v15                                       // 0000000025E4: D86C0000 0D00000F
	s_barrier                                                  // 0000000025EC: BF8A0000
	s_nop 1                                                    // 0000000025F0: BF800001
	s_mul_i32 s25, s11, 1                                      // 0000000025F4: 9219810B
	s_lshl_b32 s25, s25, 2                                     // 0000000025F8: 8E198219
	s_lshl_b32 s26, 0, 7                                       // 0000000025FC: 8E1A8780
	v_add_u32_e32 v7, s25, v6                                  // 000000002600: 680E0C19
	v_add_u32_e32 v7, s26, v7                                  // 000000002604: 680E0E1A
	s_mov_b64 exec, s[32:33]                                   // 000000002608: BEFE0120
	buffer_store_dword v12, v7, s[16:19], 0 offen              // 00000000260C: E0701000 80040C07
	v_add_u32_e32 v7, s11, v7                                  // 000000002614: 680E0E0B
	buffer_store_dword v13, v7, s[16:19], 0 offen              // 000000002618: E0701000 80040D07
	s_mov_b64 exec, -1                                         // 000000002620: BEFE01C1
	s_mul_i32 s25, s8, 2                                       // 000000002624: 92198208
	s_lshl_b32 s25, s25, 2                                     // 000000002628: 8E198219
	v_add_u32_e32 v5, s25, v4                                  // 00000000262C: 680A0819
	v_mov_b32_e32 v8, 0                                        // 000000002630: 7E100280
	v_mov_b32_e32 v9, 0                                        // 000000002634: 7E120280
	v_mov_b32_e32 v10, 0                                       // 000000002638: 7E140280
	v_mov_b32_e32 v11, 0                                       // 00000000263C: 7E160280
	s_mov_b64 exec, s[30:31]                                   // 000000002640: BEFE011E
	buffer_load_dwordx4 v[8:11], v5, s[12:15], 0 offen         // 000000002644: E05C1000 80030805
	s_mov_b64 exec, -1                                         // 00000000264C: BEFE01C1
	v_add_u32_e32 v5, 0x100, v5                                // 000000002650: 680A0AFF 00000100
	s_waitcnt vmcnt(0) expcnt(0) lgkmcnt(0)                    // 000000002658: BF8C0000
	s_barrier                                                  // 00000000265C: BF8A0000
	v_cmp_u_f32_e64 s[36:37], v8, v8                           // 000000002660: D0480024 00021108
	v_add3_u32 v17, v8, v20, 1                                 // 000000002668: D1FF0011 02062908
	v_cndmask_b32_e64 v14, v17, v19, s[36:37]                  // 000000002670: D100000E 00922711
	v_cmp_u_f32_e64 s[36:37], v9, v9                           // 000000002678: D0480024 00021309
	v_add3_u32 v17, v9, v20, 1                                 // 000000002680: D1FF0011 02062909
	v_cndmask_b32_e64 v15, v17, v19, s[36:37]                  // 000000002688: D100000F 00922711
	v_perm_b32 v12, v15, v14, s38                              // 000000002690: D1ED000C 009A1D0F
	v_cmp_u_f32_e64 s[36:37], v10, v10                         // 000000002698: D0480024 0002150A
	v_add3_u32 v17, v10, v20, 1                                // 0000000026A0: D1FF0011 0206290A
	v_cndmask_b32_e64 v14, v17, v19, s[36:37]                  // 0000000026A8: D100000E 00922711
	v_cmp_u_f32_e64 s[36:37], v11, v11                         // 0000000026B0: D0480024 0002170B
	v_add3_u32 v17, v11, v20, 1                                // 0000000026B8: D1FF0011 0206290B
	v_cndmask_b32_e64 v15, v17, v19, s[36:37]                  // 0000000026C0: D100000F 00922711
	v_perm_b32 v13, v15, v14, s38                              // 0000000026C8: D1ED000D 009A1D0F
	s_nop 1                                                    // 0000000026D0: BF800001
	s_mul_i32 s25, s24, 0x100                                  // 0000000026D4: 9219FF18 00000100
	s_lshl_b32 s25, s25, 2                                     // 0000000026DC: 8E198219
	v_mov_b32_e32 v14, v0                                      // 0000000026E0: 7E1C0300
	v_lshlrev_b32_e32 v14, 2, v14                              // 0000000026E4: 241C1C82
	v_add_u32_e64 v14, v14, s25                                // 0000000026E8: D134000E 0000330E
	v_add_u32_e32 v15, 0x100, v14                              // 0000000026F0: 681E1CFF 00000100
	ds_write_b32 v14, v12                                      // 0000000026F8: D81A0000 00000C0E
	ds_write_b32 v15, v13                                      // 000000002700: D81A0000 00000D0F
	s_barrier                                                  // 000000002708: BF8A0000
	v_lshrrev_b32_e32 v14, 4, v0                               // 00000000270C: 201C0084
	v_and_b32_e64 v15, v14, 1                                  // 000000002710: D113000F 0001030E
	v_lshrrev_b32_e32 v16, 1, v14                              // 000000002718: 20201C81
	v_lshlrev_b32_e32 v14, 1, v15                              // 00000000271C: 241C1E81
	v_add_u32_e32 v14, v14, v16                                // 000000002720: 681C210E
	v_lshlrev_b32_e32 v14, 7, v14                              // 000000002724: 241C1C87
	v_and_b32_e64 v15, v0, 15                                  // 000000002728: D113000F 00011F00
	v_lshlrev_b32_e32 v15, 2, v15                              // 000000002730: 241E1E82
	v_add_u32_e32 v14, v15, v14                                // 000000002734: 681C1D0F
	v_add_u32_e64 v14, v14, s25                                // 000000002738: D134000E 0000330E
	v_add_u32_e32 v15, 64, v14                                 // 000000002740: 681E1CC0
	ds_read_b32 v12, v14                                       // 000000002744: D86C0000 0C00000E
	ds_read_b32 v13, v15                                       // 00000000274C: D86C0000 0D00000F
	s_barrier                                                  // 000000002754: BF8A0000
	s_nop 1                                                    // 000000002758: BF800001
	s_mul_i32 s25, s11, 2                                      // 00000000275C: 9219820B
	s_lshl_b32 s25, s25, 2                                     // 000000002760: 8E198219
	s_lshl_b32 s26, 0, 7                                       // 000000002764: 8E1A8780
	v_add_u32_e32 v7, s25, v6                                  // 000000002768: 680E0C19
	v_add_u32_e32 v7, s26, v7                                  // 00000000276C: 680E0E1A
	s_mov_b64 exec, s[32:33]                                   // 000000002770: BEFE0120
	buffer_store_dword v12, v7, s[16:19], 0 offen              // 000000002774: E0701000 80040C07
	v_add_u32_e32 v7, s11, v7                                  // 00000000277C: 680E0E0B
	buffer_store_dword v13, v7, s[16:19], 0 offen              // 000000002780: E0701000 80040D07
	s_mov_b64 exec, -1                                         // 000000002788: BEFE01C1
	s_mul_i32 s25, s8, 3                                       // 00000000278C: 92198308
	s_lshl_b32 s25, s25, 2                                     // 000000002790: 8E198219
	v_add_u32_e32 v5, s25, v4                                  // 000000002794: 680A0819
	v_mov_b32_e32 v8, 0                                        // 000000002798: 7E100280
	v_mov_b32_e32 v9, 0                                        // 00000000279C: 7E120280
	v_mov_b32_e32 v10, 0                                       // 0000000027A0: 7E140280
	v_mov_b32_e32 v11, 0                                       // 0000000027A4: 7E160280
	s_mov_b64 exec, s[30:31]                                   // 0000000027A8: BEFE011E
	buffer_load_dwordx4 v[8:11], v5, s[12:15], 0 offen         // 0000000027AC: E05C1000 80030805
	s_mov_b64 exec, -1                                         // 0000000027B4: BEFE01C1
	v_add_u32_e32 v5, 0x100, v5                                // 0000000027B8: 680A0AFF 00000100
	s_waitcnt vmcnt(0) expcnt(0) lgkmcnt(0)                    // 0000000027C0: BF8C0000
	s_barrier                                                  // 0000000027C4: BF8A0000
	v_cmp_u_f32_e64 s[36:37], v8, v8                           // 0000000027C8: D0480024 00021108
	v_add3_u32 v17, v8, v20, 1                                 // 0000000027D0: D1FF0011 02062908
	v_cndmask_b32_e64 v14, v17, v19, s[36:37]                  // 0000000027D8: D100000E 00922711
	v_cmp_u_f32_e64 s[36:37], v9, v9                           // 0000000027E0: D0480024 00021309
	v_add3_u32 v17, v9, v20, 1                                 // 0000000027E8: D1FF0011 02062909
	v_cndmask_b32_e64 v15, v17, v19, s[36:37]                  // 0000000027F0: D100000F 00922711
	v_perm_b32 v12, v15, v14, s38                              // 0000000027F8: D1ED000C 009A1D0F
	v_cmp_u_f32_e64 s[36:37], v10, v10                         // 000000002800: D0480024 0002150A
	v_add3_u32 v17, v10, v20, 1                                // 000000002808: D1FF0011 0206290A
	v_cndmask_b32_e64 v14, v17, v19, s[36:37]                  // 000000002810: D100000E 00922711
	v_cmp_u_f32_e64 s[36:37], v11, v11                         // 000000002818: D0480024 0002170B
	v_add3_u32 v17, v11, v20, 1                                // 000000002820: D1FF0011 0206290B
	v_cndmask_b32_e64 v15, v17, v19, s[36:37]                  // 000000002828: D100000F 00922711
	v_perm_b32 v13, v15, v14, s38                              // 000000002830: D1ED000D 009A1D0F
	s_nop 1                                                    // 000000002838: BF800001
	s_mul_i32 s25, s24, 0x100                                  // 00000000283C: 9219FF18 00000100
	s_lshl_b32 s25, s25, 2                                     // 000000002844: 8E198219
	v_mov_b32_e32 v14, v0                                      // 000000002848: 7E1C0300
	v_lshlrev_b32_e32 v14, 2, v14                              // 00000000284C: 241C1C82
	v_add_u32_e64 v14, v14, s25                                // 000000002850: D134000E 0000330E
	v_add_u32_e32 v15, 0x100, v14                              // 000000002858: 681E1CFF 00000100
	ds_write_b32 v14, v12                                      // 000000002860: D81A0000 00000C0E
	ds_write_b32 v15, v13                                      // 000000002868: D81A0000 00000D0F
	s_barrier                                                  // 000000002870: BF8A0000
	v_lshrrev_b32_e32 v14, 4, v0                               // 000000002874: 201C0084
	v_and_b32_e64 v15, v14, 1                                  // 000000002878: D113000F 0001030E
	v_lshrrev_b32_e32 v16, 1, v14                              // 000000002880: 20201C81
	v_lshlrev_b32_e32 v14, 1, v15                              // 000000002884: 241C1E81
	v_add_u32_e32 v14, v14, v16                                // 000000002888: 681C210E
	v_lshlrev_b32_e32 v14, 7, v14                              // 00000000288C: 241C1C87
	v_and_b32_e64 v15, v0, 15                                  // 000000002890: D113000F 00011F00
	v_lshlrev_b32_e32 v15, 2, v15                              // 000000002898: 241E1E82
	v_add_u32_e32 v14, v15, v14                                // 00000000289C: 681C1D0F
	v_add_u32_e64 v14, v14, s25                                // 0000000028A0: D134000E 0000330E
	v_add_u32_e32 v15, 64, v14                                 // 0000000028A8: 681E1CC0
	ds_read_b32 v12, v14                                       // 0000000028AC: D86C0000 0C00000E
	ds_read_b32 v13, v15                                       // 0000000028B4: D86C0000 0D00000F
	s_barrier                                                  // 0000000028BC: BF8A0000
	s_nop 1                                                    // 0000000028C0: BF800001
	s_mul_i32 s25, s11, 3                                      // 0000000028C4: 9219830B
	s_lshl_b32 s25, s25, 2                                     // 0000000028C8: 8E198219
	s_lshl_b32 s26, 0, 7                                       // 0000000028CC: 8E1A8780
	v_add_u32_e32 v7, s25, v6                                  // 0000000028D0: 680E0C19
	v_add_u32_e32 v7, s26, v7                                  // 0000000028D4: 680E0E1A
	s_mov_b64 exec, s[32:33]                                   // 0000000028D8: BEFE0120
	buffer_store_dword v12, v7, s[16:19], 0 offen              // 0000000028DC: E0701000 80040C07
	v_add_u32_e32 v7, s11, v7                                  // 0000000028E4: 680E0E0B
	buffer_store_dword v13, v7, s[16:19], 0 offen              // 0000000028E8: E0701000 80040D07
	s_mov_b64 exec, -1                                         // 0000000028F0: BEFE01C1

00000000000028f4 <label_01FD>:
	s_waitcnt vmcnt(0) expcnt(0) lgkmcnt(0)                    // 0000000028F4: BF8C0000
	s_endpgm                                                   // 0000000028F8: BF810000
